;; amdgpu-corpus repo=ROCm/rocFFT kind=compiled arch=gfx1030 opt=O3
	.text
	.amdgcn_target "amdgcn-amd-amdhsa--gfx1030"
	.amdhsa_code_object_version 6
	.protected	fft_rtc_fwd_len512_factors_8_8_8_wgs_64_tpt_64_halfLds_half_op_CI_CI_unitstride_sbrr_R2C_dirReg ; -- Begin function fft_rtc_fwd_len512_factors_8_8_8_wgs_64_tpt_64_halfLds_half_op_CI_CI_unitstride_sbrr_R2C_dirReg
	.globl	fft_rtc_fwd_len512_factors_8_8_8_wgs_64_tpt_64_halfLds_half_op_CI_CI_unitstride_sbrr_R2C_dirReg
	.p2align	8
	.type	fft_rtc_fwd_len512_factors_8_8_8_wgs_64_tpt_64_halfLds_half_op_CI_CI_unitstride_sbrr_R2C_dirReg,@function
fft_rtc_fwd_len512_factors_8_8_8_wgs_64_tpt_64_halfLds_half_op_CI_CI_unitstride_sbrr_R2C_dirReg: ; @fft_rtc_fwd_len512_factors_8_8_8_wgs_64_tpt_64_halfLds_half_op_CI_CI_unitstride_sbrr_R2C_dirReg
; %bb.0:
	s_clause 0x2
	s_load_dwordx4 s[12:15], s[4:5], 0x0
	s_load_dwordx4 s[8:11], s[4:5], 0x58
	;; [unrolled: 1-line block ×3, first 2 shown]
	v_mov_b32_e32 v6, 0
	v_mov_b32_e32 v10, 0
	v_mov_b32_e32 v8, s6
	v_mov_b32_e32 v11, 0
	v_mov_b32_e32 v9, v6
	s_waitcnt lgkmcnt(0)
	v_cmp_lt_u64_e64 s0, s[14:15], 2
	s_and_b32 vcc_lo, exec_lo, s0
	s_cbranch_vccnz .LBB0_8
; %bb.1:
	s_load_dwordx2 s[0:1], s[4:5], 0x10
	v_mov_b32_e32 v10, 0
	v_mov_b32_e32 v11, 0
	s_add_u32 s2, s18, 8
	s_addc_u32 s3, s19, 0
	v_mov_b32_e32 v2, v10
	s_add_u32 s6, s16, 8
	v_mov_b32_e32 v3, v11
	s_addc_u32 s7, s17, 0
	s_mov_b64 s[22:23], 1
	s_waitcnt lgkmcnt(0)
	s_add_u32 s20, s0, 8
	s_addc_u32 s21, s1, 0
.LBB0_2:                                ; =>This Inner Loop Header: Depth=1
	s_load_dwordx2 s[24:25], s[20:21], 0x0
                                        ; implicit-def: $vgpr4_vgpr5
	s_mov_b32 s0, exec_lo
	s_waitcnt lgkmcnt(0)
	v_or_b32_e32 v7, s25, v9
	v_cmpx_ne_u64_e32 0, v[6:7]
	s_xor_b32 s1, exec_lo, s0
	s_cbranch_execz .LBB0_4
; %bb.3:                                ;   in Loop: Header=BB0_2 Depth=1
	v_cvt_f32_u32_e32 v1, s24
	v_cvt_f32_u32_e32 v4, s25
	s_sub_u32 s0, 0, s24
	s_subb_u32 s26, 0, s25
	v_fmac_f32_e32 v1, 0x4f800000, v4
	v_rcp_f32_e32 v1, v1
	v_mul_f32_e32 v1, 0x5f7ffffc, v1
	v_mul_f32_e32 v4, 0x2f800000, v1
	v_trunc_f32_e32 v4, v4
	v_fmac_f32_e32 v1, 0xcf800000, v4
	v_cvt_u32_f32_e32 v4, v4
	v_cvt_u32_f32_e32 v1, v1
	v_mul_lo_u32 v5, s0, v4
	v_mul_hi_u32 v7, s0, v1
	v_mul_lo_u32 v12, s26, v1
	v_add_nc_u32_e32 v5, v7, v5
	v_mul_lo_u32 v7, s0, v1
	v_add_nc_u32_e32 v5, v5, v12
	v_mul_hi_u32 v12, v1, v7
	v_mul_lo_u32 v13, v1, v5
	v_mul_hi_u32 v14, v1, v5
	v_mul_hi_u32 v15, v4, v7
	v_mul_lo_u32 v7, v4, v7
	v_mul_hi_u32 v16, v4, v5
	v_mul_lo_u32 v5, v4, v5
	v_add_co_u32 v12, vcc_lo, v12, v13
	v_add_co_ci_u32_e32 v13, vcc_lo, 0, v14, vcc_lo
	v_add_co_u32 v7, vcc_lo, v12, v7
	v_add_co_ci_u32_e32 v7, vcc_lo, v13, v15, vcc_lo
	v_add_co_ci_u32_e32 v12, vcc_lo, 0, v16, vcc_lo
	v_add_co_u32 v5, vcc_lo, v7, v5
	v_add_co_ci_u32_e32 v7, vcc_lo, 0, v12, vcc_lo
	v_add_co_u32 v1, vcc_lo, v1, v5
	v_add_co_ci_u32_e32 v4, vcc_lo, v4, v7, vcc_lo
	v_mul_hi_u32 v5, s0, v1
	v_mul_lo_u32 v12, s26, v1
	v_mul_lo_u32 v7, s0, v4
	v_add_nc_u32_e32 v5, v5, v7
	v_mul_lo_u32 v7, s0, v1
	v_add_nc_u32_e32 v5, v5, v12
	v_mul_hi_u32 v12, v1, v7
	v_mul_lo_u32 v13, v1, v5
	v_mul_hi_u32 v14, v1, v5
	v_mul_hi_u32 v15, v4, v7
	v_mul_lo_u32 v7, v4, v7
	v_mul_hi_u32 v16, v4, v5
	v_mul_lo_u32 v5, v4, v5
	v_add_co_u32 v12, vcc_lo, v12, v13
	v_add_co_ci_u32_e32 v13, vcc_lo, 0, v14, vcc_lo
	v_add_co_u32 v7, vcc_lo, v12, v7
	v_add_co_ci_u32_e32 v7, vcc_lo, v13, v15, vcc_lo
	v_add_co_ci_u32_e32 v12, vcc_lo, 0, v16, vcc_lo
	v_add_co_u32 v5, vcc_lo, v7, v5
	v_add_co_ci_u32_e32 v7, vcc_lo, 0, v12, vcc_lo
	v_add_co_u32 v1, vcc_lo, v1, v5
	v_add_co_ci_u32_e32 v7, vcc_lo, v4, v7, vcc_lo
	v_mul_hi_u32 v16, v8, v1
	v_mad_u64_u32 v[12:13], null, v9, v1, 0
	v_mad_u64_u32 v[4:5], null, v8, v7, 0
	;; [unrolled: 1-line block ×3, first 2 shown]
	v_add_co_u32 v1, vcc_lo, v16, v4
	v_add_co_ci_u32_e32 v4, vcc_lo, 0, v5, vcc_lo
	v_add_co_u32 v1, vcc_lo, v1, v12
	v_add_co_ci_u32_e32 v1, vcc_lo, v4, v13, vcc_lo
	v_add_co_ci_u32_e32 v4, vcc_lo, 0, v15, vcc_lo
	v_add_co_u32 v1, vcc_lo, v1, v14
	v_add_co_ci_u32_e32 v7, vcc_lo, 0, v4, vcc_lo
	v_mul_lo_u32 v12, s25, v1
	v_mad_u64_u32 v[4:5], null, s24, v1, 0
	v_mul_lo_u32 v13, s24, v7
	v_sub_co_u32 v4, vcc_lo, v8, v4
	v_add3_u32 v5, v5, v13, v12
	v_sub_nc_u32_e32 v12, v9, v5
	v_subrev_co_ci_u32_e64 v12, s0, s25, v12, vcc_lo
	v_add_co_u32 v13, s0, v1, 2
	v_add_co_ci_u32_e64 v14, s0, 0, v7, s0
	v_sub_co_u32 v15, s0, v4, s24
	v_sub_co_ci_u32_e32 v5, vcc_lo, v9, v5, vcc_lo
	v_subrev_co_ci_u32_e64 v12, s0, 0, v12, s0
	v_cmp_le_u32_e32 vcc_lo, s24, v15
	v_cmp_eq_u32_e64 s0, s25, v5
	v_cndmask_b32_e64 v15, 0, -1, vcc_lo
	v_cmp_le_u32_e32 vcc_lo, s25, v12
	v_cndmask_b32_e64 v16, 0, -1, vcc_lo
	v_cmp_le_u32_e32 vcc_lo, s24, v4
	;; [unrolled: 2-line block ×3, first 2 shown]
	v_cndmask_b32_e64 v17, 0, -1, vcc_lo
	v_cmp_eq_u32_e32 vcc_lo, s25, v12
	v_cndmask_b32_e64 v4, v17, v4, s0
	v_cndmask_b32_e32 v12, v16, v15, vcc_lo
	v_add_co_u32 v15, vcc_lo, v1, 1
	v_add_co_ci_u32_e32 v16, vcc_lo, 0, v7, vcc_lo
	v_cmp_ne_u32_e32 vcc_lo, 0, v12
	v_cndmask_b32_e32 v5, v16, v14, vcc_lo
	v_cndmask_b32_e32 v12, v15, v13, vcc_lo
	v_cmp_ne_u32_e32 vcc_lo, 0, v4
	v_cndmask_b32_e32 v5, v7, v5, vcc_lo
	v_cndmask_b32_e32 v4, v1, v12, vcc_lo
.LBB0_4:                                ;   in Loop: Header=BB0_2 Depth=1
	s_andn2_saveexec_b32 s0, s1
	s_cbranch_execz .LBB0_6
; %bb.5:                                ;   in Loop: Header=BB0_2 Depth=1
	v_cvt_f32_u32_e32 v1, s24
	s_sub_i32 s1, 0, s24
	v_rcp_iflag_f32_e32 v1, v1
	v_mul_f32_e32 v1, 0x4f7ffffe, v1
	v_cvt_u32_f32_e32 v1, v1
	v_mul_lo_u32 v4, s1, v1
	v_mul_hi_u32 v4, v1, v4
	v_add_nc_u32_e32 v1, v1, v4
	v_mul_hi_u32 v1, v8, v1
	v_mul_lo_u32 v4, v1, s24
	v_add_nc_u32_e32 v5, 1, v1
	v_sub_nc_u32_e32 v4, v8, v4
	v_subrev_nc_u32_e32 v7, s24, v4
	v_cmp_le_u32_e32 vcc_lo, s24, v4
	v_cndmask_b32_e32 v4, v4, v7, vcc_lo
	v_cndmask_b32_e32 v1, v1, v5, vcc_lo
	v_cmp_le_u32_e32 vcc_lo, s24, v4
	v_add_nc_u32_e32 v5, 1, v1
	v_cndmask_b32_e32 v4, v1, v5, vcc_lo
	v_mov_b32_e32 v5, v6
.LBB0_6:                                ;   in Loop: Header=BB0_2 Depth=1
	s_or_b32 exec_lo, exec_lo, s0
	v_mul_lo_u32 v1, v5, s24
	v_mul_lo_u32 v7, v4, s25
	s_load_dwordx2 s[0:1], s[6:7], 0x0
	v_mad_u64_u32 v[12:13], null, v4, s24, 0
	s_load_dwordx2 s[24:25], s[2:3], 0x0
	s_add_u32 s22, s22, 1
	s_addc_u32 s23, s23, 0
	s_add_u32 s2, s2, 8
	s_addc_u32 s3, s3, 0
	s_add_u32 s6, s6, 8
	v_add3_u32 v1, v13, v7, v1
	v_sub_co_u32 v7, vcc_lo, v8, v12
	s_addc_u32 s7, s7, 0
	s_add_u32 s20, s20, 8
	v_sub_co_ci_u32_e32 v1, vcc_lo, v9, v1, vcc_lo
	s_addc_u32 s21, s21, 0
	s_waitcnt lgkmcnt(0)
	v_mul_lo_u32 v8, s0, v1
	v_mul_lo_u32 v9, s1, v7
	v_mad_u64_u32 v[10:11], null, s0, v7, v[10:11]
	v_mul_lo_u32 v1, s24, v1
	v_mul_lo_u32 v12, s25, v7
	v_mad_u64_u32 v[2:3], null, s24, v7, v[2:3]
	v_cmp_ge_u64_e64 s0, s[22:23], s[14:15]
	v_add3_u32 v11, v9, v11, v8
	v_add3_u32 v3, v12, v3, v1
	s_and_b32 vcc_lo, exec_lo, s0
	s_cbranch_vccnz .LBB0_9
; %bb.7:                                ;   in Loop: Header=BB0_2 Depth=1
	v_mov_b32_e32 v9, v5
	v_mov_b32_e32 v8, v4
	s_branch .LBB0_2
.LBB0_8:
	v_mov_b32_e32 v2, v10
	v_mov_b32_e32 v4, v8
	;; [unrolled: 1-line block ×4, first 2 shown]
.LBB0_9:
	s_load_dwordx2 s[0:1], s[4:5], 0x28
	s_lshl_b64 s[4:5], s[14:15], 3
	v_or_b32_e32 v6, 64, v0
	v_or_b32_e32 v9, 0x80, v0
	;; [unrolled: 1-line block ×7, first 2 shown]
	s_add_u32 s2, s18, s4
	s_addc_u32 s3, s19, s5
	s_waitcnt lgkmcnt(0)
	v_cmp_gt_u64_e32 vcc_lo, s[0:1], v[4:5]
	v_cmp_le_u64_e64 s0, s[0:1], v[4:5]
	s_and_saveexec_b32 s1, s0
	s_xor_b32 s0, exec_lo, s1
; %bb.10:
	v_or_b32_e32 v6, 64, v0
	v_or_b32_e32 v9, 0x80, v0
	v_or_b32_e32 v8, 0xc0, v0
	v_or_b32_e32 v13, 0x100, v0
	v_or_b32_e32 v7, 0x140, v0
	v_or_b32_e32 v12, 0x180, v0
	v_or_b32_e32 v1, 0x1c0, v0
                                        ; implicit-def: $vgpr10_vgpr11
; %bb.11:
	s_andn2_saveexec_b32 s1, s0
	s_cbranch_execz .LBB0_13
; %bb.12:
	s_add_u32 s4, s16, s4
	s_addc_u32 s5, s17, s5
	v_lshlrev_b64 v[10:11], 2, v[10:11]
	s_load_dwordx2 s[4:5], s[4:5], 0x0
	s_waitcnt lgkmcnt(0)
	v_mul_lo_u32 v16, s5, v4
	v_mul_lo_u32 v17, s4, v5
	v_mad_u64_u32 v[14:15], null, s4, v4, 0
	v_add3_u32 v15, v15, v17, v16
	v_lshlrev_b32_e32 v16, 2, v0
	v_lshlrev_b64 v[14:15], 2, v[14:15]
	v_add_co_u32 v14, s0, s8, v14
	v_add_co_ci_u32_e64 v15, s0, s9, v15, s0
	v_add_co_u32 v10, s0, v14, v10
	v_add_co_ci_u32_e64 v11, s0, v15, v11, s0
	v_add_co_u32 v10, s0, v10, v16
	v_add_co_ci_u32_e64 v11, s0, 0, v11, s0
	s_clause 0x7
	global_load_dword v14, v[10:11], off
	global_load_dword v15, v[10:11], off offset:256
	global_load_dword v17, v[10:11], off offset:512
	;; [unrolled: 1-line block ×7, first 2 shown]
	v_add_nc_u32_e32 v11, 0, v16
	s_waitcnt vmcnt(6)
	ds_write2st64_b32 v11, v14, v15 offset1:1
	s_waitcnt vmcnt(4)
	ds_write2st64_b32 v11, v17, v18 offset0:2 offset1:3
	s_waitcnt vmcnt(2)
	ds_write2st64_b32 v11, v19, v20 offset0:4 offset1:5
	;; [unrolled: 2-line block ×3, first 2 shown]
.LBB0_13:
	s_or_b32 exec_lo, exec_lo, s1
	v_lshlrev_b32_e32 v10, 2, v0
	s_load_dwordx2 s[2:3], s[2:3], 0x0
	s_waitcnt lgkmcnt(0)
	s_barrier
	buffer_gl0_inv
	v_add_nc_u32_e32 v11, 0, v10
	v_and_b32_e32 v22, 7, v0
	v_lshl_add_u32 v13, v13, 2, 0
	v_lshl_add_u32 v7, v7, 2, 0
	;; [unrolled: 1-line block ×3, first 2 shown]
	ds_read2st64_b32 v[14:15], v11 offset1:1
	ds_read2st64_b32 v[16:17], v11 offset0:2 offset1:3
	ds_read2st64_b32 v[18:19], v11 offset0:4 offset1:5
	;; [unrolled: 1-line block ×3, first 2 shown]
	v_mul_u32_u24_e32 v22, 7, v22
	v_mad_u32_u24 v23, v0, 28, v11
	s_waitcnt lgkmcnt(0)
	s_barrier
	buffer_gl0_inv
	v_lshl_add_u32 v1, v1, 2, 0
	s_mov_b32 s1, exec_lo
	v_pk_add_f16 v18, v14, v18 neg_lo:[0,1] neg_hi:[0,1]
	v_pk_add_f16 v19, v15, v19 neg_lo:[0,1] neg_hi:[0,1]
	;; [unrolled: 1-line block ×4, first 2 shown]
	v_lshrrev_b32_e32 v24, 16, v18
	v_lshrrev_b32_e32 v27, 16, v19
	v_pk_fma_f16 v14, v14, 2.0, v18 op_sel_hi:[1,0,1] neg_lo:[0,0,1] neg_hi:[0,0,1]
	v_pk_fma_f16 v16, v16, 2.0, v20 op_sel_hi:[1,0,1] neg_lo:[0,0,1] neg_hi:[0,0,1]
	;; [unrolled: 1-line block ×3, first 2 shown]
	v_sub_f16_sdwa v25, v18, v20 dst_sel:DWORD dst_unused:UNUSED_PAD src0_sel:DWORD src1_sel:WORD_1
	v_sub_f16_sdwa v26, v19, v21 dst_sel:DWORD dst_unused:UNUSED_PAD src0_sel:DWORD src1_sel:WORD_1
	v_add_f16_e32 v20, v24, v20
	v_add_f16_e32 v21, v27, v21
	v_pk_fma_f16 v15, v15, 2.0, v19 op_sel_hi:[1,0,1] neg_lo:[0,0,1] neg_hi:[0,0,1]
	v_pk_add_f16 v16, v14, v16 neg_lo:[0,1] neg_hi:[0,1]
	v_fma_f16 v18, v18, 2.0, -v25
	v_fma_f16 v19, v19, 2.0, -v26
	v_fmamk_f16 v28, v26, 0x39a8, v25
	v_fma_f16 v24, v24, 2.0, -v20
	v_fma_f16 v27, v27, 2.0, -v21
	v_pk_add_f16 v17, v15, v17 neg_lo:[0,1] neg_hi:[0,1]
	v_lshrrev_b32_e32 v31, 16, v16
	v_fmamk_f16 v32, v21, 0x39a8, v20
	v_fmamk_f16 v29, v19, 0xb9a8, v18
	v_fmac_f16_e32 v28, 0xb9a8, v21
	v_fmamk_f16 v21, v27, 0xb9a8, v24
	v_pk_fma_f16 v15, v15, 2.0, v17 op_sel_hi:[1,0,1] neg_lo:[0,0,1] neg_hi:[0,0,1]
	v_sub_f16_sdwa v30, v16, v17 dst_sel:DWORD dst_unused:UNUSED_PAD src0_sel:DWORD src1_sel:WORD_1
	v_add_f16_e32 v17, v31, v17
	v_fmac_f16_e32 v32, 0x39a8, v26
	v_pk_fma_f16 v14, v14, 2.0, v16 op_sel_hi:[1,0,1] neg_lo:[0,0,1] neg_hi:[0,0,1]
	v_fmac_f16_e32 v29, 0xb9a8, v27
	v_fmac_f16_e32 v21, 0x39a8, v19
	v_fma_f16 v16, v16, 2.0, -v30
	v_fma_f16 v19, v20, 2.0, -v32
	;; [unrolled: 1-line block ×4, first 2 shown]
	v_pk_add_f16 v15, v14, v15 neg_lo:[0,1] neg_hi:[0,1]
	v_fma_f16 v18, v18, 2.0, -v29
	v_fma_f16 v24, v24, 2.0, -v21
	v_pack_b32_f16 v26, v28, v32
	v_pack_b32_f16 v17, v30, v17
	;; [unrolled: 1-line block ×4, first 2 shown]
	v_lshlrev_b32_e32 v21, 2, v22
	v_pack_b32_f16 v19, v25, v19
	v_pk_fma_f16 v14, v14, 2.0, v15 op_sel_hi:[1,0,1] neg_lo:[0,0,1] neg_hi:[0,0,1]
	v_pack_b32_f16 v18, v18, v24
	ds_write2_b32 v23, v17, v26 offset0:6 offset1:7
	ds_write2_b32 v23, v16, v19 offset0:2 offset1:3
	;; [unrolled: 1-line block ×3, first 2 shown]
	ds_write2_b32 v23, v14, v18 offset1:1
	s_waitcnt lgkmcnt(0)
	s_barrier
	buffer_gl0_inv
	s_clause 0x1
	global_load_dwordx4 v[14:17], v21, s[12:13]
	global_load_dwordx3 v[18:20], v21, s[12:13] offset:16
	ds_read2st64_b32 v[21:22], v11 offset0:6 offset1:7
	ds_read2st64_b32 v[23:24], v11 offset1:1
	ds_read2st64_b32 v[25:26], v11 offset0:2 offset1:3
	ds_read2st64_b32 v[27:28], v11 offset0:4 offset1:5
	v_lshl_or_b32 v29, v0, 3, v0
	v_mul_u32_u24_e32 v30, 7, v0
	s_waitcnt vmcnt(0) lgkmcnt(0)
	s_barrier
	buffer_gl0_inv
	v_and_b32_e32 v29, 0x1c7, v29
	v_lshlrev_b32_e32 v30, 2, v30
	v_lshl_add_u32 v29, v29, 2, 0
	v_lshrrev_b32_e32 v31, 16, v22
	v_lshrrev_b32_e32 v32, 16, v24
	;; [unrolled: 1-line block ×8, first 2 shown]
	v_mul_f16_sdwa v39, v14, v32 dst_sel:DWORD dst_unused:UNUSED_PAD src0_sel:WORD_1 src1_sel:DWORD
	v_mul_f16_sdwa v40, v14, v24 dst_sel:DWORD dst_unused:UNUSED_PAD src0_sel:WORD_1 src1_sel:DWORD
	;; [unrolled: 1-line block ×12, first 2 shown]
	v_mul_f16_sdwa v51, v31, v20 dst_sel:DWORD dst_unused:UNUSED_PAD src0_sel:DWORD src1_sel:WORD_1
	v_mul_f16_sdwa v52, v22, v20 dst_sel:DWORD dst_unused:UNUSED_PAD src0_sel:DWORD src1_sel:WORD_1
	v_fma_f16 v24, v14, v24, -v39
	v_fmac_f16_e32 v40, v14, v32
	v_fma_f16 v14, v15, v25, -v41
	v_fmac_f16_e32 v42, v15, v33
	;; [unrolled: 2-line block ×7, first 2 shown]
	v_sub_f16_e32 v16, v23, v16
	v_sub_f16_e32 v20, v38, v46
	;; [unrolled: 1-line block ×8, first 2 shown]
	v_fma_f16 v23, v23, 2.0, -v16
	v_fma_f16 v26, v38, 2.0, -v20
	v_fma_f16 v14, v14, 2.0, -v18
	v_fma_f16 v27, v42, 2.0, -v21
	v_fma_f16 v24, v24, 2.0, -v17
	v_fma_f16 v28, v40, 2.0, -v22
	v_fma_f16 v15, v15, 2.0, -v19
	v_fma_f16 v31, v44, 2.0, -v25
	v_sub_f16_e32 v21, v16, v21
	v_add_f16_e32 v18, v20, v18
	v_sub_f16_e32 v25, v17, v25
	v_add_f16_e32 v19, v22, v19
	v_sub_f16_e32 v14, v23, v14
	v_sub_f16_e32 v27, v26, v27
	v_fma_f16 v16, v16, 2.0, -v21
	v_fma_f16 v20, v20, 2.0, -v18
	v_sub_f16_e32 v15, v24, v15
	v_sub_f16_e32 v31, v28, v31
	v_fma_f16 v17, v17, 2.0, -v25
	v_fma_f16 v22, v22, 2.0, -v19
	v_fmamk_f16 v32, v25, 0x39a8, v21
	v_fmamk_f16 v33, v19, 0x39a8, v18
	v_fma_f16 v23, v23, 2.0, -v14
	v_fma_f16 v26, v26, 2.0, -v27
	v_fma_f16 v24, v24, 2.0, -v15
	v_fma_f16 v28, v28, 2.0, -v31
	v_fmamk_f16 v34, v17, 0xb9a8, v16
	v_fmamk_f16 v35, v22, 0xb9a8, v20
	v_sub_f16_e32 v31, v14, v31
	v_add_f16_e32 v15, v27, v15
	v_fmac_f16_e32 v32, 0xb9a8, v19
	v_fmac_f16_e32 v33, 0x39a8, v25
	v_sub_f16_e32 v19, v23, v24
	v_sub_f16_e32 v24, v26, v28
	v_fmac_f16_e32 v34, 0xb9a8, v22
	v_fmac_f16_e32 v35, 0x39a8, v17
	v_fma_f16 v14, v14, 2.0, -v31
	v_fma_f16 v17, v27, 2.0, -v15
	;; [unrolled: 1-line block ×8, first 2 shown]
	v_pack_b32_f16 v15, v31, v15
	v_pack_b32_f16 v22, v32, v33
	;; [unrolled: 1-line block ×8, first 2 shown]
	ds_write2_b32 v29, v15, v22 offset0:48 offset1:56
	ds_write2_b32 v29, v14, v17 offset0:16 offset1:24
	;; [unrolled: 1-line block ×3, first 2 shown]
	ds_write2_b32 v29, v21, v16 offset1:8
	s_waitcnt lgkmcnt(0)
	s_barrier
	buffer_gl0_inv
	s_clause 0x1
	global_load_dwordx4 v[17:20], v30, s[12:13] offset:224
	global_load_dwordx3 v[21:23], v30, s[12:13] offset:240
	ds_read2st64_b32 v[24:25], v11 offset0:6 offset1:7
	ds_read2st64_b32 v[26:27], v11 offset1:1
	ds_read2st64_b32 v[28:29], v11 offset0:2 offset1:3
	ds_read2st64_b32 v[30:31], v11 offset0:4 offset1:5
	v_lshl_add_u32 v16, v6, 2, 0
	v_lshl_add_u32 v15, v9, 2, 0
	;; [unrolled: 1-line block ×3, first 2 shown]
	s_waitcnt vmcnt(0) lgkmcnt(0)
	s_barrier
	buffer_gl0_inv
	v_lshrrev_b32_e32 v32, 16, v25
	v_lshrrev_b32_e32 v33, 16, v27
	;; [unrolled: 1-line block ×8, first 2 shown]
	v_mul_f16_sdwa v40, v17, v33 dst_sel:DWORD dst_unused:UNUSED_PAD src0_sel:WORD_1 src1_sel:DWORD
	v_mul_f16_sdwa v41, v17, v27 dst_sel:DWORD dst_unused:UNUSED_PAD src0_sel:WORD_1 src1_sel:DWORD
	v_mul_f16_sdwa v42, v18, v34 dst_sel:DWORD dst_unused:UNUSED_PAD src0_sel:WORD_1 src1_sel:DWORD
	v_mul_f16_sdwa v43, v18, v28 dst_sel:DWORD dst_unused:UNUSED_PAD src0_sel:WORD_1 src1_sel:DWORD
	v_mul_f16_sdwa v44, v19, v35 dst_sel:DWORD dst_unused:UNUSED_PAD src0_sel:WORD_1 src1_sel:DWORD
	v_mul_f16_sdwa v45, v19, v29 dst_sel:DWORD dst_unused:UNUSED_PAD src0_sel:WORD_1 src1_sel:DWORD
	v_mul_f16_sdwa v46, v20, v36 dst_sel:DWORD dst_unused:UNUSED_PAD src0_sel:WORD_1 src1_sel:DWORD
	v_mul_f16_sdwa v47, v20, v30 dst_sel:DWORD dst_unused:UNUSED_PAD src0_sel:WORD_1 src1_sel:DWORD
	v_mul_f16_sdwa v48, v21, v37 dst_sel:DWORD dst_unused:UNUSED_PAD src0_sel:WORD_1 src1_sel:DWORD
	v_mul_f16_sdwa v49, v21, v31 dst_sel:DWORD dst_unused:UNUSED_PAD src0_sel:WORD_1 src1_sel:DWORD
	v_mul_f16_sdwa v50, v22, v38 dst_sel:DWORD dst_unused:UNUSED_PAD src0_sel:WORD_1 src1_sel:DWORD
	v_mul_f16_sdwa v51, v22, v24 dst_sel:DWORD dst_unused:UNUSED_PAD src0_sel:WORD_1 src1_sel:DWORD
	v_mul_f16_sdwa v52, v32, v23 dst_sel:DWORD dst_unused:UNUSED_PAD src0_sel:DWORD src1_sel:WORD_1
	v_mul_f16_sdwa v53, v25, v23 dst_sel:DWORD dst_unused:UNUSED_PAD src0_sel:DWORD src1_sel:WORD_1
	v_fma_f16 v27, v17, v27, -v40
	v_fmac_f16_e32 v41, v17, v33
	v_fma_f16 v17, v18, v28, -v42
	v_fmac_f16_e32 v43, v18, v34
	;; [unrolled: 2-line block ×7, first 2 shown]
	v_sub_f16_e32 v19, v26, v19
	v_sub_f16_e32 v23, v39, v47
	;; [unrolled: 1-line block ×8, first 2 shown]
	v_fma_f16 v26, v26, 2.0, -v19
	v_fma_f16 v29, v39, 2.0, -v23
	;; [unrolled: 1-line block ×8, first 2 shown]
	v_sub_f16_e32 v24, v19, v24
	v_add_f16_e32 v21, v23, v21
	v_sub_f16_e32 v28, v20, v28
	v_add_f16_e32 v22, v25, v22
	v_sub_f16_e32 v17, v26, v17
	v_sub_f16_e32 v30, v29, v30
	;; [unrolled: 1-line block ×4, first 2 shown]
	v_fma_f16 v19, v19, 2.0, -v24
	v_fma_f16 v23, v23, 2.0, -v21
	;; [unrolled: 1-line block ×4, first 2 shown]
	v_fmamk_f16 v33, v28, 0x39a8, v24
	v_fma_f16 v26, v26, 2.0, -v17
	v_fma_f16 v29, v29, 2.0, -v30
	;; [unrolled: 1-line block ×4, first 2 shown]
	v_fmamk_f16 v35, v20, 0xb9a8, v19
	v_fmamk_f16 v36, v25, 0xb9a8, v23
	;; [unrolled: 1-line block ×3, first 2 shown]
	v_sub_f16_e32 v32, v17, v32
	v_add_f16_e32 v18, v30, v18
	v_fmac_f16_e32 v33, 0xb9a8, v22
	v_sub_f16_e32 v22, v26, v27
	v_sub_f16_e32 v27, v29, v31
	v_fmac_f16_e32 v35, 0xb9a8, v25
	v_fmac_f16_e32 v36, 0x39a8, v20
	;; [unrolled: 1-line block ×3, first 2 shown]
	v_fma_f16 v17, v17, 2.0, -v32
	v_fma_f16 v20, v30, 2.0, -v18
	;; [unrolled: 1-line block ×8, first 2 shown]
	v_pack_b32_f16 v17, v17, v20
	v_pack_b32_f16 v20, v25, v26
	;; [unrolled: 1-line block ×8, first 2 shown]
	ds_write_b32 v11, v20
	ds_write_b32 v16, v19
	;; [unrolled: 1-line block ×8, first 2 shown]
	s_waitcnt lgkmcnt(0)
	s_barrier
	buffer_gl0_inv
	ds_read_b32 v7, v11
	v_sub_nc_u32_e32 v12, 0, v10
                                        ; implicit-def: $vgpr13
                                        ; implicit-def: $vgpr1
	v_cmpx_ne_u32_e32 0, v0
	s_xor_b32 s1, exec_lo, s1
	s_cbranch_execz .LBB0_15
; %bb.14:
	v_mov_b32_e32 v1, 0
	v_lshlrev_b64 v[17:18], 2, v[0:1]
	ds_read_b32 v1, v12 offset:2048
	v_add_co_u32 v17, s0, s12, v17
	v_add_co_ci_u32_e64 v18, s0, s13, v18, s0
	global_load_dword v10, v[17:18], off offset:2016
	s_waitcnt lgkmcnt(0)
	v_sub_f16_e32 v13, v7, v1
	v_add_f16_sdwa v17, v1, v7 dst_sel:DWORD dst_unused:UNUSED_PAD src0_sel:WORD_1 src1_sel:WORD_1
	v_sub_f16_sdwa v18, v7, v1 dst_sel:DWORD dst_unused:UNUSED_PAD src0_sel:WORD_1 src1_sel:WORD_1
	v_add_f16_e32 v7, v1, v7
	v_mul_f16_e32 v13, 0.5, v13
	v_mul_f16_e32 v17, 0.5, v17
	;; [unrolled: 1-line block ×3, first 2 shown]
	s_waitcnt vmcnt(0)
	v_lshrrev_b32_e32 v19, 16, v10
	v_mul_f16_e32 v20, v19, v13
	v_fma_f16 v21, v17, v19, v18
	v_fma_f16 v18, v17, v19, -v18
	v_fma_f16 v1, 0.5, v7, v20
	v_fma_f16 v7, v7, 0.5, -v20
	v_fma_f16 v19, -v10, v13, v21
	v_fma_f16 v18, -v10, v13, v18
	ds_write_b16 v11, v19 offset:2
	ds_write_b16 v12, v18 offset:2050
	v_fmac_f16_e32 v1, v10, v17
	v_fma_f16 v13, -v10, v17, v7
                                        ; implicit-def: $vgpr7
.LBB0_15:
	s_andn2_saveexec_b32 s0, s1
	s_cbranch_execz .LBB0_17
; %bb.16:
	v_mov_b32_e32 v10, 0
	s_waitcnt lgkmcnt(0)
	v_add_f16_sdwa v1, v7, v7 dst_sel:DWORD dst_unused:UNUSED_PAD src0_sel:WORD_1 src1_sel:DWORD
	ds_write_b16 v11, v10 offset:2
	ds_write_b16 v12, v10 offset:2050
	ds_read_u16 v13, v10 offset:1026
	s_waitcnt lgkmcnt(0)
	v_xor_b32_e32 v17, 0x8000, v13
	v_sub_f16_sdwa v13, v7, v7 dst_sel:DWORD dst_unused:UNUSED_PAD src0_sel:DWORD src1_sel:WORD_1
	ds_write_b16 v10, v17 offset:1026
.LBB0_17:
	s_or_b32 exec_lo, exec_lo, s0
	s_waitcnt lgkmcnt(0)
	v_mov_b32_e32 v7, 0
	v_lshlrev_b64 v[17:18], 2, v[6:7]
	v_mov_b32_e32 v10, v7
	v_lshlrev_b64 v[9:10], 2, v[9:10]
	v_add_co_u32 v17, s0, s12, v17
	v_add_co_ci_u32_e64 v18, s0, s13, v18, s0
	v_add_co_u32 v9, s0, s12, v9
	global_load_dword v6, v[17:18], off offset:2016
	v_add_co_ci_u32_e64 v10, s0, s13, v10, s0
	global_load_dword v10, v[9:10], off offset:2016
	v_mov_b32_e32 v9, v7
	v_lshlrev_b64 v[8:9], 2, v[8:9]
	v_add_co_u32 v8, s0, s12, v8
	v_add_co_ci_u32_e64 v9, s0, s13, v9, s0
	global_load_dword v8, v[8:9], off offset:2016
	ds_write_b16 v11, v1
	ds_write_b16 v12, v13 offset:2048
	ds_read_b32 v1, v16
	ds_read_b32 v9, v12 offset:1792
	s_waitcnt lgkmcnt(0)
	v_pk_add_f16 v11, v1, v9 neg_lo:[0,1] neg_hi:[0,1]
	v_pk_add_f16 v1, v1, v9
	v_bfi_b32 v9, 0xffff, v11, v1
	v_bfi_b32 v1, 0xffff, v1, v11
	v_pk_mul_f16 v9, v9, 0.5 op_sel_hi:[1,0]
	v_pk_mul_f16 v1, v1, 0.5 op_sel_hi:[1,0]
	s_waitcnt vmcnt(2)
	v_pk_fma_f16 v11, v6, v9, v1 op_sel:[1,0,0]
	v_pk_mul_f16 v13, v6, v9 op_sel_hi:[0,1]
	v_pk_fma_f16 v17, v6, v9, v1 op_sel:[1,0,0] neg_lo:[1,0,0] neg_hi:[1,0,0]
	v_pk_fma_f16 v1, v6, v9, v1 op_sel:[1,0,0] neg_lo:[0,0,1] neg_hi:[0,0,1]
	v_pk_add_f16 v6, v11, v13 op_sel:[0,1] op_sel_hi:[1,0]
	v_pk_add_f16 v9, v11, v13 op_sel:[0,1] op_sel_hi:[1,0] neg_lo:[0,1] neg_hi:[0,1]
	v_pk_add_f16 v11, v17, v13 op_sel:[0,1] op_sel_hi:[1,0] neg_lo:[0,1] neg_hi:[0,1]
	;; [unrolled: 1-line block ×3, first 2 shown]
	v_bfi_b32 v6, 0xffff, v6, v9
	v_bfi_b32 v1, 0xffff, v11, v1
	ds_write_b32 v16, v6
	ds_write_b32 v12, v1 offset:1792
	ds_read_b32 v1, v15
	ds_read_b32 v6, v12 offset:1536
	s_waitcnt lgkmcnt(0)
	v_pk_add_f16 v9, v1, v6 neg_lo:[0,1] neg_hi:[0,1]
	v_pk_add_f16 v1, v1, v6
	v_bfi_b32 v6, 0xffff, v9, v1
	v_bfi_b32 v1, 0xffff, v1, v9
	v_pk_mul_f16 v6, v6, 0.5 op_sel_hi:[1,0]
	v_pk_mul_f16 v1, v1, 0.5 op_sel_hi:[1,0]
	s_waitcnt vmcnt(1)
	v_pk_mul_f16 v11, v10, v6 op_sel_hi:[0,1]
	v_pk_fma_f16 v9, v10, v6, v1 op_sel:[1,0,0]
	v_pk_fma_f16 v13, v10, v6, v1 op_sel:[1,0,0] neg_lo:[1,0,0] neg_hi:[1,0,0]
	v_pk_fma_f16 v1, v10, v6, v1 op_sel:[1,0,0] neg_lo:[0,0,1] neg_hi:[0,0,1]
	v_pk_add_f16 v6, v9, v11 op_sel:[0,1] op_sel_hi:[1,0]
	v_pk_add_f16 v9, v9, v11 op_sel:[0,1] op_sel_hi:[1,0] neg_lo:[0,1] neg_hi:[0,1]
	v_pk_add_f16 v10, v13, v11 op_sel:[0,1] op_sel_hi:[1,0] neg_lo:[0,1] neg_hi:[0,1]
	;; [unrolled: 1-line block ×3, first 2 shown]
	v_bfi_b32 v6, 0xffff, v6, v9
	v_bfi_b32 v1, 0xffff, v10, v1
	ds_write_b32 v15, v6
	ds_write_b32 v12, v1 offset:1536
	ds_read_b32 v1, v14
	ds_read_b32 v6, v12 offset:1280
	s_waitcnt lgkmcnt(0)
	v_pk_add_f16 v9, v1, v6 neg_lo:[0,1] neg_hi:[0,1]
	v_pk_add_f16 v1, v1, v6
	v_bfi_b32 v6, 0xffff, v9, v1
	v_bfi_b32 v1, 0xffff, v1, v9
	v_pk_mul_f16 v6, v6, 0.5 op_sel_hi:[1,0]
	v_pk_mul_f16 v10, v1, 0.5 op_sel_hi:[1,0]
	s_waitcnt vmcnt(0)
	v_pk_mul_f16 v9, v8, v6 op_sel:[1,0]
	v_pk_mul_f16 v6, v8, v6 op_sel_hi:[0,1]
	v_pk_fma_f16 v1, v1, 0.5, v9 op_sel_hi:[1,0,1]
	v_sub_f16_sdwa v8, v9, v10 dst_sel:DWORD dst_unused:UNUSED_PAD src0_sel:WORD_1 src1_sel:WORD_1
	v_sub_f16_e32 v9, v10, v9
	v_pk_add_f16 v11, v1, v6 op_sel:[0,1] op_sel_hi:[1,0]
	v_pk_add_f16 v1, v1, v6 op_sel:[0,1] op_sel_hi:[1,0] neg_lo:[0,1] neg_hi:[0,1]
	v_sub_f16_e32 v8, v8, v6
	v_sub_f16_sdwa v6, v9, v6 dst_sel:DWORD dst_unused:UNUSED_PAD src0_sel:DWORD src1_sel:WORD_1
	v_bfi_b32 v1, 0xffff, v11, v1
	ds_write_b16 v12, v8 offset:1282
	ds_write_b32 v14, v1
	ds_write_b16 v12, v6 offset:1280
	s_waitcnt lgkmcnt(0)
	s_barrier
	buffer_gl0_inv
	s_and_saveexec_b32 s0, vcc_lo
	s_cbranch_execz .LBB0_20
; %bb.18:
	v_mul_lo_u32 v6, s3, v4
	v_mul_lo_u32 v8, s2, v5
	v_mad_u64_u32 v[4:5], null, s2, v4, 0
	v_mov_b32_e32 v1, v7
	v_lshl_add_u32 v22, v0, 2, 0
	v_lshlrev_b64 v[2:3], 2, v[2:3]
	ds_read2st64_b32 v[12:13], v22 offset1:1
	ds_read2st64_b32 v[14:15], v22 offset0:2 offset1:3
	v_add3_u32 v5, v5, v8, v6
	v_add_nc_u32_e32 v6, 64, v0
	v_lshlrev_b64 v[8:9], 2, v[0:1]
	ds_read2st64_b32 v[20:21], v22 offset0:4 offset1:5
	ds_read2st64_b32 v[22:23], v22 offset0:6 offset1:7
	v_lshlrev_b64 v[4:5], 2, v[4:5]
	v_lshlrev_b64 v[10:11], 2, v[6:7]
	v_add_nc_u32_e32 v6, 0x80, v0
	v_add_co_u32 v1, vcc_lo, s10, v4
	v_add_co_ci_u32_e32 v16, vcc_lo, s11, v5, vcc_lo
	v_lshlrev_b64 v[4:5], 2, v[6:7]
	v_add_co_u32 v1, vcc_lo, v1, v2
	v_add_co_ci_u32_e32 v2, vcc_lo, v16, v3, vcc_lo
	v_add_nc_u32_e32 v6, 0xc0, v0
	v_add_co_u32 v8, vcc_lo, v1, v8
	v_add_co_ci_u32_e32 v9, vcc_lo, v2, v9, vcc_lo
	v_add_co_u32 v10, vcc_lo, v1, v10
	v_lshlrev_b64 v[16:17], 2, v[6:7]
	v_add_nc_u32_e32 v6, 0x100, v0
	v_add_co_ci_u32_e32 v11, vcc_lo, v2, v11, vcc_lo
	v_add_co_u32 v3, vcc_lo, v1, v4
	v_add_co_ci_u32_e32 v4, vcc_lo, v2, v5, vcc_lo
	v_lshlrev_b64 v[18:19], 2, v[6:7]
	v_add_nc_u32_e32 v6, 0x140, v0
	v_add_co_u32 v16, vcc_lo, v1, v16
	v_add_co_ci_u32_e32 v17, vcc_lo, v2, v17, vcc_lo
	s_waitcnt lgkmcnt(3)
	global_store_dword v[8:9], v12, off
	global_store_dword v[10:11], v13, off
	s_waitcnt lgkmcnt(2)
	global_store_dword v[3:4], v14, off
	global_store_dword v[16:17], v15, off
	v_lshlrev_b64 v[3:4], 2, v[6:7]
	v_add_nc_u32_e32 v6, 0x180, v0
	v_add_co_u32 v8, vcc_lo, v1, v18
	v_add_co_ci_u32_e32 v9, vcc_lo, v2, v19, vcc_lo
	v_lshlrev_b64 v[10:11], 2, v[6:7]
	v_add_nc_u32_e32 v6, 0x1c0, v0
	v_add_co_u32 v3, vcc_lo, v1, v3
	v_add_co_ci_u32_e32 v4, vcc_lo, v2, v4, vcc_lo
	v_lshlrev_b64 v[5:6], 2, v[6:7]
	v_add_co_u32 v10, vcc_lo, v1, v10
	v_add_co_ci_u32_e32 v11, vcc_lo, v2, v11, vcc_lo
	v_add_co_u32 v5, vcc_lo, v1, v5
	v_add_co_ci_u32_e32 v6, vcc_lo, v2, v6, vcc_lo
	v_cmp_eq_u32_e32 vcc_lo, 63, v0
	s_waitcnt lgkmcnt(1)
	global_store_dword v[8:9], v20, off
	global_store_dword v[3:4], v21, off
	s_waitcnt lgkmcnt(0)
	global_store_dword v[10:11], v22, off
	global_store_dword v[5:6], v23, off
	s_and_b32 exec_lo, exec_lo, vcc_lo
	s_cbranch_execz .LBB0_20
; %bb.19:
	v_mov_b32_e32 v0, 0
	ds_read_b32 v3, v0 offset:2048
	v_add_co_u32 v0, vcc_lo, 0x800, v1
	v_add_co_ci_u32_e32 v1, vcc_lo, 0, v2, vcc_lo
	s_waitcnt lgkmcnt(0)
	global_store_dword v[0:1], v3, off
.LBB0_20:
	s_endpgm
	.section	.rodata,"a",@progbits
	.p2align	6, 0x0
	.amdhsa_kernel fft_rtc_fwd_len512_factors_8_8_8_wgs_64_tpt_64_halfLds_half_op_CI_CI_unitstride_sbrr_R2C_dirReg
		.amdhsa_group_segment_fixed_size 0
		.amdhsa_private_segment_fixed_size 0
		.amdhsa_kernarg_size 104
		.amdhsa_user_sgpr_count 6
		.amdhsa_user_sgpr_private_segment_buffer 1
		.amdhsa_user_sgpr_dispatch_ptr 0
		.amdhsa_user_sgpr_queue_ptr 0
		.amdhsa_user_sgpr_kernarg_segment_ptr 1
		.amdhsa_user_sgpr_dispatch_id 0
		.amdhsa_user_sgpr_flat_scratch_init 0
		.amdhsa_user_sgpr_private_segment_size 0
		.amdhsa_wavefront_size32 1
		.amdhsa_uses_dynamic_stack 0
		.amdhsa_system_sgpr_private_segment_wavefront_offset 0
		.amdhsa_system_sgpr_workgroup_id_x 1
		.amdhsa_system_sgpr_workgroup_id_y 0
		.amdhsa_system_sgpr_workgroup_id_z 0
		.amdhsa_system_sgpr_workgroup_info 0
		.amdhsa_system_vgpr_workitem_id 0
		.amdhsa_next_free_vgpr 54
		.amdhsa_next_free_sgpr 27
		.amdhsa_reserve_vcc 1
		.amdhsa_reserve_flat_scratch 0
		.amdhsa_float_round_mode_32 0
		.amdhsa_float_round_mode_16_64 0
		.amdhsa_float_denorm_mode_32 3
		.amdhsa_float_denorm_mode_16_64 3
		.amdhsa_dx10_clamp 1
		.amdhsa_ieee_mode 1
		.amdhsa_fp16_overflow 0
		.amdhsa_workgroup_processor_mode 1
		.amdhsa_memory_ordered 1
		.amdhsa_forward_progress 0
		.amdhsa_shared_vgpr_count 0
		.amdhsa_exception_fp_ieee_invalid_op 0
		.amdhsa_exception_fp_denorm_src 0
		.amdhsa_exception_fp_ieee_div_zero 0
		.amdhsa_exception_fp_ieee_overflow 0
		.amdhsa_exception_fp_ieee_underflow 0
		.amdhsa_exception_fp_ieee_inexact 0
		.amdhsa_exception_int_div_zero 0
	.end_amdhsa_kernel
	.text
.Lfunc_end0:
	.size	fft_rtc_fwd_len512_factors_8_8_8_wgs_64_tpt_64_halfLds_half_op_CI_CI_unitstride_sbrr_R2C_dirReg, .Lfunc_end0-fft_rtc_fwd_len512_factors_8_8_8_wgs_64_tpt_64_halfLds_half_op_CI_CI_unitstride_sbrr_R2C_dirReg
                                        ; -- End function
	.section	.AMDGPU.csdata,"",@progbits
; Kernel info:
; codeLenInByte = 5052
; NumSgprs: 29
; NumVgprs: 54
; ScratchSize: 0
; MemoryBound: 0
; FloatMode: 240
; IeeeMode: 1
; LDSByteSize: 0 bytes/workgroup (compile time only)
; SGPRBlocks: 3
; VGPRBlocks: 6
; NumSGPRsForWavesPerEU: 29
; NumVGPRsForWavesPerEU: 54
; Occupancy: 16
; WaveLimiterHint : 1
; COMPUTE_PGM_RSRC2:SCRATCH_EN: 0
; COMPUTE_PGM_RSRC2:USER_SGPR: 6
; COMPUTE_PGM_RSRC2:TRAP_HANDLER: 0
; COMPUTE_PGM_RSRC2:TGID_X_EN: 1
; COMPUTE_PGM_RSRC2:TGID_Y_EN: 0
; COMPUTE_PGM_RSRC2:TGID_Z_EN: 0
; COMPUTE_PGM_RSRC2:TIDIG_COMP_CNT: 0
	.text
	.p2alignl 6, 3214868480
	.fill 48, 4, 3214868480
	.type	__hip_cuid_68589ca1924020cb,@object ; @__hip_cuid_68589ca1924020cb
	.section	.bss,"aw",@nobits
	.globl	__hip_cuid_68589ca1924020cb
__hip_cuid_68589ca1924020cb:
	.byte	0                               ; 0x0
	.size	__hip_cuid_68589ca1924020cb, 1

	.ident	"AMD clang version 19.0.0git (https://github.com/RadeonOpenCompute/llvm-project roc-6.4.0 25133 c7fe45cf4b819c5991fe208aaa96edf142730f1d)"
	.section	".note.GNU-stack","",@progbits
	.addrsig
	.addrsig_sym __hip_cuid_68589ca1924020cb
	.amdgpu_metadata
---
amdhsa.kernels:
  - .args:
      - .actual_access:  read_only
        .address_space:  global
        .offset:         0
        .size:           8
        .value_kind:     global_buffer
      - .offset:         8
        .size:           8
        .value_kind:     by_value
      - .actual_access:  read_only
        .address_space:  global
        .offset:         16
        .size:           8
        .value_kind:     global_buffer
      - .actual_access:  read_only
        .address_space:  global
        .offset:         24
        .size:           8
        .value_kind:     global_buffer
      - .actual_access:  read_only
        .address_space:  global
        .offset:         32
        .size:           8
        .value_kind:     global_buffer
      - .offset:         40
        .size:           8
        .value_kind:     by_value
      - .actual_access:  read_only
        .address_space:  global
        .offset:         48
        .size:           8
        .value_kind:     global_buffer
      - .actual_access:  read_only
        .address_space:  global
        .offset:         56
        .size:           8
        .value_kind:     global_buffer
      - .offset:         64
        .size:           4
        .value_kind:     by_value
      - .actual_access:  read_only
        .address_space:  global
        .offset:         72
        .size:           8
        .value_kind:     global_buffer
      - .actual_access:  read_only
        .address_space:  global
        .offset:         80
        .size:           8
        .value_kind:     global_buffer
      - .actual_access:  read_only
        .address_space:  global
        .offset:         88
        .size:           8
        .value_kind:     global_buffer
      - .actual_access:  write_only
        .address_space:  global
        .offset:         96
        .size:           8
        .value_kind:     global_buffer
    .group_segment_fixed_size: 0
    .kernarg_segment_align: 8
    .kernarg_segment_size: 104
    .language:       OpenCL C
    .language_version:
      - 2
      - 0
    .max_flat_workgroup_size: 64
    .name:           fft_rtc_fwd_len512_factors_8_8_8_wgs_64_tpt_64_halfLds_half_op_CI_CI_unitstride_sbrr_R2C_dirReg
    .private_segment_fixed_size: 0
    .sgpr_count:     29
    .sgpr_spill_count: 0
    .symbol:         fft_rtc_fwd_len512_factors_8_8_8_wgs_64_tpt_64_halfLds_half_op_CI_CI_unitstride_sbrr_R2C_dirReg.kd
    .uniform_work_group_size: 1
    .uses_dynamic_stack: false
    .vgpr_count:     54
    .vgpr_spill_count: 0
    .wavefront_size: 32
    .workgroup_processor_mode: 1
amdhsa.target:   amdgcn-amd-amdhsa--gfx1030
amdhsa.version:
  - 1
  - 2
...

	.end_amdgpu_metadata
